;; amdgpu-corpus repo=ROCm/rocFFT kind=compiled arch=gfx906 opt=O3
	.text
	.amdgcn_target "amdgcn-amd-amdhsa--gfx906"
	.amdhsa_code_object_version 6
	.protected	bluestein_single_fwd_len256_dim1_half_op_CI_CI ; -- Begin function bluestein_single_fwd_len256_dim1_half_op_CI_CI
	.globl	bluestein_single_fwd_len256_dim1_half_op_CI_CI
	.p2align	8
	.type	bluestein_single_fwd_len256_dim1_half_op_CI_CI,@function
bluestein_single_fwd_len256_dim1_half_op_CI_CI: ; @bluestein_single_fwd_len256_dim1_half_op_CI_CI
; %bb.0:
	s_load_dwordx4 s[12:15], s[4:5], 0x28
	s_mov_b32 s7, 0
	s_waitcnt lgkmcnt(0)
	v_mov_b32_e32 v1, s12
	v_mov_b32_e32 v2, s13
	v_cmp_lt_u64_e32 vcc, s[6:7], v[1:2]
	s_and_saveexec_b64 s[0:1], vcc
	s_cbranch_execz .LBB0_2
; %bb.1:
	s_load_dwordx4 s[0:3], s[4:5], 0x18
	s_load_dwordx4 s[8:11], s[4:5], 0x0
	v_mov_b32_e32 v11, s7
	v_mov_b32_e32 v10, s6
	;; [unrolled: 1-line block ×3, first 2 shown]
	s_waitcnt lgkmcnt(0)
	s_load_dwordx4 s[16:19], s[0:1], 0x0
	s_add_u32 s6, s8, 0x400
	s_addc_u32 s7, s9, 0
	v_lshlrev_b32_e32 v13, 2, v0
	global_load_dword v11, v13, s[8:9]
	s_waitcnt lgkmcnt(0)
	v_mad_u64_u32 v[1:2], s[0:1], s18, v10, 0
	v_mad_u64_u32 v[3:4], s[0:1], s16, v0, 0
	v_lshlrev_b32_e32 v16, 4, v0
	v_and_b32_e32 v18, 15, v0
	v_mad_u64_u32 v[5:6], s[0:1], s19, v10, v[2:3]
	v_mad_u64_u32 v[6:7], s[0:1], s17, v0, v[4:5]
	v_mov_b32_e32 v2, v5
	v_lshlrev_b64 v[1:2], 2, v[1:2]
	v_mov_b32_e32 v4, v6
	v_add_co_u32_e32 v5, vcc, s14, v1
	v_addc_co_u32_e32 v6, vcc, v8, v2, vcc
	v_lshlrev_b64 v[1:2], 2, v[3:4]
	s_lshl_b64 s[0:1], s[16:17], 8
	v_add_co_u32_e32 v1, vcc, v5, v1
	v_addc_co_u32_e32 v2, vcc, v6, v2, vcc
	global_load_dword v3, v[1:2], off
	v_mov_b32_e32 v4, s1
	v_add_co_u32_e32 v1, vcc, s0, v1
	v_addc_co_u32_e32 v2, vcc, v2, v4, vcc
	global_load_dword v5, v[1:2], off
	global_load_dword v12, v13, s[8:9] offset:256
	v_add_co_u32_e32 v1, vcc, s0, v1
	v_addc_co_u32_e32 v2, vcc, v2, v4, vcc
	global_load_dword v6, v[1:2], off
	global_load_dword v14, v13, s[8:9] offset:512
	;; [unrolled: 4-line block ×3, first 2 shown]
	s_load_dwordx4 s[0:3], s[2:3], 0x0
	v_and_b32_e32 v7, 3, v0
	s_waitcnt vmcnt(6)
	v_lshrrev_b32_e32 v1, 16, v3
	v_mul_f16_sdwa v2, v11, v3 dst_sel:DWORD dst_unused:UNUSED_PAD src0_sel:WORD_1 src1_sel:DWORD
	v_mul_f16_sdwa v8, v11, v1 dst_sel:DWORD dst_unused:UNUSED_PAD src0_sel:WORD_1 src1_sel:DWORD
	v_fma_f16 v1, v11, v1, -v2
	v_fma_f16 v3, v11, v3, v8
	s_waitcnt vmcnt(5)
	v_lshrrev_b32_e32 v2, 16, v5
	s_waitcnt vmcnt(4)
	v_mul_f16_sdwa v9, v12, v5 dst_sel:DWORD dst_unused:UNUSED_PAD src0_sel:WORD_1 src1_sel:DWORD
	v_mul_f16_sdwa v8, v12, v2 dst_sel:DWORD dst_unused:UNUSED_PAD src0_sel:WORD_1 src1_sel:DWORD
	v_fma_f16 v2, v12, v2, -v9
	v_pack_b32_f16 v1, v3, v1
	s_waitcnt vmcnt(3)
	v_lshrrev_b32_e32 v9, 16, v6
	s_waitcnt vmcnt(2)
	v_mul_f16_sdwa v17, v14, v6 dst_sel:DWORD dst_unused:UNUSED_PAD src0_sel:WORD_1 src1_sel:DWORD
	v_fma_f16 v3, v12, v5, v8
	v_mul_f16_sdwa v5, v14, v9 dst_sel:DWORD dst_unused:UNUSED_PAD src0_sel:WORD_1 src1_sel:DWORD
	v_fma_f16 v8, v14, v9, -v17
	s_waitcnt vmcnt(1)
	v_lshrrev_b32_e32 v9, 16, v4
	s_waitcnt vmcnt(0)
	v_mul_f16_sdwa v17, v15, v4 dst_sel:DWORD dst_unused:UNUSED_PAD src0_sel:WORD_1 src1_sel:DWORD
	v_pack_b32_f16 v2, v3, v2
	v_fma_f16 v3, v14, v6, v5
	v_mul_f16_sdwa v5, v15, v9 dst_sel:DWORD dst_unused:UNUSED_PAD src0_sel:WORD_1 src1_sel:DWORD
	v_fma_f16 v6, v15, v9, -v17
	ds_write2st64_b32 v13, v1, v2 offset1:1
	v_fma_f16 v2, v15, v4, v5
	v_pack_b32_f16 v1, v3, v8
	v_pack_b32_f16 v2, v2, v6
	ds_write2st64_b32 v13, v1, v2 offset0:2 offset1:3
	s_waitcnt lgkmcnt(0)
	; wave barrier
	s_waitcnt lgkmcnt(0)
	ds_read2st64_b32 v[1:2], v13 offset1:1
	ds_read2st64_b32 v[3:4], v13 offset0:2 offset1:3
	v_mad_u64_u32 v[5:6], s[12:13], v7, 12, s[10:11]
	s_waitcnt lgkmcnt(0)
	; wave barrier
	s_waitcnt lgkmcnt(0)
	v_pk_add_f16 v8, v1, v3 neg_lo:[0,1] neg_hi:[0,1]
	v_pk_add_f16 v4, v2, v4 neg_lo:[0,1] neg_hi:[0,1]
	v_pk_fma_f16 v1, v1, 2.0, v8 op_sel_hi:[1,0,1] neg_lo:[0,0,1] neg_hi:[0,0,1]
	v_pk_fma_f16 v2, v2, 2.0, v4 op_sel_hi:[1,0,1] neg_lo:[0,0,1] neg_hi:[0,0,1]
	v_lshrrev_b32_e32 v17, 16, v8
	v_sub_f16_sdwa v9, v8, v4 dst_sel:DWORD dst_unused:UNUSED_PAD src0_sel:DWORD src1_sel:WORD_1
	v_pk_add_f16 v3, v1, v2 neg_lo:[0,1] neg_hi:[0,1]
	v_add_f16_e32 v2, v17, v4
	v_fma_f16 v8, v8, 2.0, -v9
	v_pack_b32_f16 v4, v9, v2
	v_fma_f16 v2, v17, 2.0, -v2
	v_pk_fma_f16 v1, v1, 2.0, v3 op_sel_hi:[1,0,1] neg_lo:[0,0,1] neg_hi:[0,0,1]
	v_pack_b32_f16 v2, v8, v2
	ds_write_b128 v16, v[1:4]
	s_waitcnt lgkmcnt(0)
	; wave barrier
	s_waitcnt lgkmcnt(0)
	global_load_dwordx3 v[1:3], v[5:6], off
	s_movk_i32 s12, 0xf0
	v_and_or_b32 v4, v13, s12, v7
	v_lshlrev_b32_e32 v17, 2, v4
	ds_read2st64_b32 v[4:5], v13 offset0:2 offset1:3
	ds_read2st64_b32 v[8:9], v13 offset1:1
	v_mad_u64_u32 v[6:7], s[12:13], v18, 12, s[10:11]
	s_waitcnt lgkmcnt(0)
	v_lshrrev_b32_e32 v19, 16, v4
	v_lshrrev_b32_e32 v20, 16, v5
	;; [unrolled: 1-line block ×4, first 2 shown]
	; wave barrier
	s_movk_i32 s12, 0xc0
	s_waitcnt vmcnt(0)
	v_mul_f16_sdwa v23, v19, v2 dst_sel:DWORD dst_unused:UNUSED_PAD src0_sel:DWORD src1_sel:WORD_1
	v_mul_f16_sdwa v24, v20, v3 dst_sel:DWORD dst_unused:UNUSED_PAD src0_sel:DWORD src1_sel:WORD_1
	;; [unrolled: 1-line block ×4, first 2 shown]
	v_fma_f16 v4, v4, v2, -v23
	v_fma_f16 v5, v5, v3, -v24
	v_mul_f16_sdwa v23, v9, v1 dst_sel:DWORD dst_unused:UNUSED_PAD src0_sel:DWORD src1_sel:WORD_1
	v_mul_f16_sdwa v24, v21, v1 dst_sel:DWORD dst_unused:UNUSED_PAD src0_sel:DWORD src1_sel:WORD_1
	v_fma_f16 v19, v19, v2, v25
	v_fma_f16 v20, v20, v3, v26
	;; [unrolled: 1-line block ×3, first 2 shown]
	v_fma_f16 v9, v9, v1, -v24
	v_sub_f16_e32 v4, v8, v4
	v_sub_f16_e32 v19, v22, v19
	;; [unrolled: 1-line block ×4, first 2 shown]
	v_fma_f16 v8, v8, 2.0, -v4
	v_fma_f16 v22, v22, 2.0, -v19
	;; [unrolled: 1-line block ×4, first 2 shown]
	v_sub_f16_e32 v20, v4, v20
	v_add_f16_e32 v5, v19, v5
	v_sub_f16_e32 v9, v8, v9
	v_sub_f16_e32 v21, v22, v21
	v_pack_b32_f16 v23, v20, v5
	v_fma_f16 v4, v4, 2.0, -v20
	v_fma_f16 v5, v19, 2.0, -v5
	v_pack_b32_f16 v4, v4, v5
	v_fma_f16 v5, v8, 2.0, -v9
	v_fma_f16 v8, v22, 2.0, -v21
	v_pack_b32_f16 v19, v9, v21
	v_pack_b32_f16 v5, v5, v8
	ds_write2_b32 v17, v19, v23 offset0:8 offset1:12
	ds_write2_b32 v17, v5, v4 offset1:4
	s_waitcnt lgkmcnt(0)
	; wave barrier
	s_waitcnt lgkmcnt(0)
	global_load_dwordx3 v[4:6], v[6:7], off offset:48
	v_and_or_b32 v7, v13, s12, v18
	v_lshlrev_b32_e32 v18, 2, v7
	ds_read2st64_b32 v[7:8], v13 offset0:2 offset1:3
	ds_read2st64_b32 v[21:22], v13 offset1:1
	v_mad_u64_u32 v[19:20], s[10:11], v0, 12, s[10:11]
	s_waitcnt lgkmcnt(0)
	v_lshrrev_b32_e32 v9, 16, v7
	v_lshrrev_b32_e32 v23, 16, v8
	; wave barrier
	s_waitcnt vmcnt(0)
	v_mul_f16_sdwa v24, v9, v5 dst_sel:DWORD dst_unused:UNUSED_PAD src0_sel:DWORD src1_sel:WORD_1
	v_mul_f16_sdwa v25, v23, v6 dst_sel:DWORD dst_unused:UNUSED_PAD src0_sel:DWORD src1_sel:WORD_1
	;; [unrolled: 1-line block ×3, first 2 shown]
	v_fma_f16 v7, v7, v5, -v24
	v_fma_f16 v24, v8, v6, -v25
	v_mul_f16_sdwa v8, v8, v6 dst_sel:DWORD dst_unused:UNUSED_PAD src0_sel:DWORD src1_sel:WORD_1
	v_lshrrev_b32_e32 v25, 16, v22
	v_fma_f16 v8, v23, v6, v8
	v_mul_f16_sdwa v23, v22, v4 dst_sel:DWORD dst_unused:UNUSED_PAD src0_sel:DWORD src1_sel:WORD_1
	v_fma_f16 v23, v25, v4, v23
	v_mul_f16_sdwa v25, v25, v4 dst_sel:DWORD dst_unused:UNUSED_PAD src0_sel:DWORD src1_sel:WORD_1
	v_fma_f16 v9, v9, v5, v26
	v_lshrrev_b32_e32 v26, 16, v21
	v_fma_f16 v22, v22, v4, -v25
	v_sub_f16_e32 v7, v21, v7
	v_sub_f16_e32 v9, v26, v9
	;; [unrolled: 1-line block ×4, first 2 shown]
	v_fma_f16 v21, v21, 2.0, -v7
	v_fma_f16 v25, v26, 2.0, -v9
	;; [unrolled: 1-line block ×4, first 2 shown]
	v_sub_f16_e32 v8, v7, v8
	v_add_f16_e32 v24, v9, v24
	v_sub_f16_e32 v22, v21, v22
	v_sub_f16_e32 v23, v25, v23
	v_pack_b32_f16 v26, v8, v24
	v_fma_f16 v7, v7, 2.0, -v8
	v_fma_f16 v8, v9, 2.0, -v24
	v_pack_b32_f16 v9, v22, v23
	v_fma_f16 v21, v21, 2.0, -v22
	v_fma_f16 v22, v25, 2.0, -v23
	v_pack_b32_f16 v7, v7, v8
	v_pack_b32_f16 v8, v21, v22
	ds_write2_b32 v18, v9, v26 offset0:32 offset1:48
	ds_write2_b32 v18, v8, v7 offset1:16
	s_waitcnt lgkmcnt(0)
	; wave barrier
	s_waitcnt lgkmcnt(0)
	global_load_dwordx3 v[7:9], v[19:20], off offset:240
	ds_read2st64_b32 v[19:20], v13 offset0:2 offset1:3
	ds_read2st64_b32 v[21:22], v13 offset1:1
	s_waitcnt lgkmcnt(1)
	v_lshrrev_b32_e32 v23, 16, v19
	v_lshrrev_b32_e32 v24, 16, v20
	s_waitcnt vmcnt(0)
	v_mul_f16_sdwa v25, v23, v8 dst_sel:DWORD dst_unused:UNUSED_PAD src0_sel:DWORD src1_sel:WORD_1
	v_mul_f16_sdwa v26, v24, v9 dst_sel:DWORD dst_unused:UNUSED_PAD src0_sel:DWORD src1_sel:WORD_1
	v_fma_f16 v25, v19, v8, -v25
	v_fma_f16 v26, v20, v9, -v26
	v_mul_f16_sdwa v19, v19, v8 dst_sel:DWORD dst_unused:UNUSED_PAD src0_sel:DWORD src1_sel:WORD_1
	v_mul_f16_sdwa v20, v20, v9 dst_sel:DWORD dst_unused:UNUSED_PAD src0_sel:DWORD src1_sel:WORD_1
	v_fma_f16 v19, v23, v8, v19
	s_waitcnt lgkmcnt(0)
	v_lshrrev_b32_e32 v23, 16, v22
	v_fma_f16 v20, v24, v9, v20
	v_mul_f16_sdwa v24, v22, v7 dst_sel:DWORD dst_unused:UNUSED_PAD src0_sel:DWORD src1_sel:WORD_1
	v_fma_f16 v24, v23, v7, v24
	v_mul_f16_sdwa v23, v23, v7 dst_sel:DWORD dst_unused:UNUSED_PAD src0_sel:DWORD src1_sel:WORD_1
	v_fma_f16 v22, v22, v7, -v23
	v_sub_f16_e32 v23, v21, v25
	v_lshrrev_b32_e32 v25, 16, v21
	v_sub_f16_e32 v19, v25, v19
	v_sub_f16_e32 v26, v22, v26
	;; [unrolled: 1-line block ×3, first 2 shown]
	v_fma_f16 v21, v21, 2.0, -v23
	v_fma_f16 v25, v25, 2.0, -v19
	;; [unrolled: 1-line block ×4, first 2 shown]
	v_sub_f16_e32 v20, v23, v20
	v_add_f16_e32 v26, v19, v26
	v_sub_f16_e32 v22, v21, v22
	v_sub_f16_e32 v24, v25, v24
	v_fma_f16 v23, v23, 2.0, -v20
	v_pack_b32_f16 v20, v20, v26
	v_fma_f16 v19, v19, 2.0, -v26
	v_pack_b32_f16 v26, v22, v24
	v_fma_f16 v21, v21, 2.0, -v22
	v_fma_f16 v22, v25, 2.0, -v24
	v_pack_b32_f16 v19, v23, v19
	ds_write2st64_b32 v13, v26, v20 offset0:2 offset1:3
	v_pack_b32_f16 v20, v21, v22
	ds_write2st64_b32 v13, v20, v19 offset1:1
	s_waitcnt lgkmcnt(0)
	; wave barrier
	s_waitcnt lgkmcnt(0)
	global_load_dword v27, v13, s[8:9] offset:1024
	v_mad_u64_u32 v[19:20], s[8:9], s2, v10, 0
	v_mad_u64_u32 v[23:24], s[8:9], s0, v0, 0
	;; [unrolled: 1-line block ×3, first 2 shown]
	v_mov_b32_e32 v10, v24
	ds_read2st64_b32 v[25:26], v13 offset1:1
	v_mad_u64_u32 v[21:22], s[2:3], s1, v0, v[10:11]
	global_load_dword v0, v13, s[6:7] offset:512
	global_load_dword v10, v13, s[6:7] offset:768
	v_mov_b32_e32 v24, v21
	ds_read2st64_b32 v[21:22], v13 offset0:2 offset1:3
	s_waitcnt lgkmcnt(1)
	v_lshrrev_b32_e32 v28, 16, v25
	s_load_dwordx2 s[2:3], s[4:5], 0x38
	v_lshlrev_b64 v[19:20], 2, v[19:20]
	v_lshlrev_b64 v[23:24], 2, v[23:24]
	s_lshl_b64 s[0:1], s[0:1], 8
	s_waitcnt vmcnt(2)
	v_mul_f16_sdwa v29, v25, v27 dst_sel:DWORD dst_unused:UNUSED_PAD src0_sel:DWORD src1_sel:WORD_1
	v_fma_f16 v29, v28, v27, v29
	v_mul_f16_sdwa v28, v28, v27 dst_sel:DWORD dst_unused:UNUSED_PAD src0_sel:DWORD src1_sel:WORD_1
	v_fma_f16 v25, v25, v27, -v28
	global_load_dword v27, v13, s[6:7] offset:256
	v_lshrrev_b32_e32 v28, 16, v26
	s_waitcnt vmcnt(0)
	v_mul_f16_sdwa v30, v28, v27 dst_sel:DWORD dst_unused:UNUSED_PAD src0_sel:DWORD src1_sel:WORD_1
	v_fma_f16 v30, v26, v27, -v30
	v_mul_f16_sdwa v26, v26, v27 dst_sel:DWORD dst_unused:UNUSED_PAD src0_sel:DWORD src1_sel:WORD_1
	v_fma_f16 v26, v28, v27, v26
	s_waitcnt lgkmcnt(0)
	v_lshrrev_b32_e32 v27, 16, v21
	v_mul_f16_sdwa v28, v21, v0 dst_sel:DWORD dst_unused:UNUSED_PAD src0_sel:DWORD src1_sel:WORD_1
	v_fma_f16 v28, v27, v0, v28
	v_mul_f16_sdwa v27, v27, v0 dst_sel:DWORD dst_unused:UNUSED_PAD src0_sel:DWORD src1_sel:WORD_1
	v_fma_f16 v0, v21, v0, -v27
	v_lshrrev_b32_e32 v21, 16, v22
	v_mul_f16_sdwa v27, v21, v10 dst_sel:DWORD dst_unused:UNUSED_PAD src0_sel:DWORD src1_sel:WORD_1
	v_fma_f16 v27, v22, v10, -v27
	v_mul_f16_sdwa v22, v22, v10 dst_sel:DWORD dst_unused:UNUSED_PAD src0_sel:DWORD src1_sel:WORD_1
	v_fma_f16 v10, v21, v10, v22
	v_pack_b32_f16 v21, v25, v29
	v_pack_b32_f16 v22, v30, v26
	;; [unrolled: 1-line block ×4, first 2 shown]
	ds_write2st64_b32 v13, v21, v22 offset1:1
	ds_write2st64_b32 v13, v0, v10 offset0:2 offset1:3
	s_waitcnt lgkmcnt(0)
	; wave barrier
	s_waitcnt lgkmcnt(0)
	ds_read2st64_b32 v[21:22], v13 offset1:1
	ds_read2st64_b32 v[25:26], v13 offset0:2 offset1:3
	v_mov_b32_e32 v29, s3
	v_add_co_u32_e32 v0, vcc, s2, v19
	v_addc_co_u32_e32 v10, vcc, v29, v20, vcc
	s_waitcnt lgkmcnt(0)
	v_pk_add_f16 v19, v21, v25 neg_lo:[0,1] neg_hi:[0,1]
	v_pk_add_f16 v20, v22, v26 neg_lo:[0,1] neg_hi:[0,1]
	v_lshrrev_b32_e32 v26, 16, v19
	v_pk_fma_f16 v25, v21, 2.0, v19 op_sel_hi:[1,0,1] neg_lo:[0,0,1] neg_hi:[0,0,1]
	v_pk_fma_f16 v21, v22, 2.0, v20 op_sel_hi:[1,0,1] neg_lo:[0,0,1] neg_hi:[0,0,1]
	v_add_f16_sdwa v22, v19, v20 dst_sel:DWORD dst_unused:UNUSED_PAD src0_sel:DWORD src1_sel:WORD_1
	v_sub_f16_e32 v20, v26, v20
	v_fma_f16 v27, v19, 2.0, -v22
	v_pk_add_f16 v21, v25, v21 neg_lo:[0,1] neg_hi:[0,1]
	v_pack_b32_f16 v22, v22, v20
	v_fma_f16 v20, v26, 2.0, -v20
	v_pk_fma_f16 v19, v25, 2.0, v21 op_sel_hi:[1,0,1] neg_lo:[0,0,1] neg_hi:[0,0,1]
	v_pack_b32_f16 v20, v27, v20
	s_waitcnt lgkmcnt(0)
	; wave barrier
	ds_write_b128 v16, v[19:22]
	s_waitcnt lgkmcnt(0)
	; wave barrier
	s_waitcnt lgkmcnt(0)
	ds_read2st64_b32 v[19:20], v13 offset0:2 offset1:3
	v_add_co_u32_e32 v21, vcc, v0, v23
	v_addc_co_u32_e32 v22, vcc, v10, v24, vcc
	ds_read2st64_b32 v[23:24], v13 offset1:1
	s_waitcnt lgkmcnt(1)
	v_lshrrev_b32_e32 v0, 16, v19
	v_lshrrev_b32_e32 v10, 16, v20
	v_mul_f16_sdwa v26, v2, v0 dst_sel:DWORD dst_unused:UNUSED_PAD src0_sel:WORD_1 src1_sel:DWORD
	v_mul_f16_sdwa v27, v3, v10 dst_sel:DWORD dst_unused:UNUSED_PAD src0_sel:WORD_1 src1_sel:DWORD
	v_mul_f16_sdwa v16, v2, v19 dst_sel:DWORD dst_unused:UNUSED_PAD src0_sel:WORD_1 src1_sel:DWORD
	v_fma_f16 v19, v2, v19, v26
	v_fma_f16 v26, v3, v20, v27
	s_waitcnt lgkmcnt(0)
	v_lshrrev_b32_e32 v27, 16, v24
	v_mul_f16_sdwa v20, v3, v20 dst_sel:DWORD dst_unused:UNUSED_PAD src0_sel:WORD_1 src1_sel:DWORD
	v_fma_f16 v0, v2, v0, -v16
	v_mul_f16_sdwa v2, v1, v24 dst_sel:DWORD dst_unused:UNUSED_PAD src0_sel:WORD_1 src1_sel:DWORD
	v_mul_f16_sdwa v16, v1, v27 dst_sel:DWORD dst_unused:UNUSED_PAD src0_sel:WORD_1 src1_sel:DWORD
	v_fma_f16 v3, v3, v10, -v20
	v_lshrrev_b32_e32 v10, 16, v23
	v_fma_f16 v2, v1, v27, -v2
	v_fma_f16 v1, v1, v24, v16
	v_sub_f16_e32 v0, v10, v0
	v_sub_f16_e32 v3, v2, v3
	;; [unrolled: 1-line block ×4, first 2 shown]
	v_fma_f16 v10, v10, 2.0, -v0
	v_fma_f16 v2, v2, 2.0, -v3
	;; [unrolled: 1-line block ×4, first 2 shown]
	v_add_f16_e32 v3, v16, v3
	v_sub_f16_e32 v19, v0, v19
	v_sub_f16_e32 v2, v10, v2
	;; [unrolled: 1-line block ×3, first 2 shown]
	v_pack_b32_f16 v23, v3, v19
	v_fma_f16 v3, v16, 2.0, -v3
	v_fma_f16 v0, v0, 2.0, -v19
	;; [unrolled: 1-line block ×3, first 2 shown]
	v_pack_b32_f16 v2, v1, v2
	v_fma_f16 v1, v20, 2.0, -v1
	v_pack_b32_f16 v0, v3, v0
	v_pack_b32_f16 v1, v1, v10
	s_waitcnt lgkmcnt(0)
	; wave barrier
	ds_write2_b32 v17, v2, v23 offset0:8 offset1:12
	ds_write2_b32 v17, v1, v0 offset1:4
	s_waitcnt lgkmcnt(0)
	; wave barrier
	s_waitcnt lgkmcnt(0)
	ds_read2st64_b32 v[0:1], v13 offset0:2 offset1:3
	ds_read2st64_b32 v[16:17], v13 offset1:1
	s_waitcnt lgkmcnt(0)
	; wave barrier
	s_waitcnt lgkmcnt(0)
	v_mov_b32_e32 v25, s1
	v_lshrrev_b32_e32 v10, 16, v0
	v_lshrrev_b32_e32 v19, 16, v1
	v_mul_f16_sdwa v20, v5, v0 dst_sel:DWORD dst_unused:UNUSED_PAD src0_sel:WORD_1 src1_sel:DWORD
	v_mul_f16_sdwa v23, v6, v1 dst_sel:DWORD dst_unused:UNUSED_PAD src0_sel:WORD_1 src1_sel:DWORD
	v_lshrrev_b32_e32 v24, 16, v17
	v_mul_f16_sdwa v26, v4, v17 dst_sel:DWORD dst_unused:UNUSED_PAD src0_sel:WORD_1 src1_sel:DWORD
	v_fma_f16 v20, v5, v10, -v20
	v_mul_f16_sdwa v10, v5, v10 dst_sel:DWORD dst_unused:UNUSED_PAD src0_sel:WORD_1 src1_sel:DWORD
	v_fma_f16 v23, v6, v19, -v23
	;; [unrolled: 2-line block ×3, first 2 shown]
	v_mul_f16_sdwa v24, v4, v24 dst_sel:DWORD dst_unused:UNUSED_PAD src0_sel:WORD_1 src1_sel:DWORD
	v_lshrrev_b32_e32 v27, 16, v16
	v_fma_f16 v0, v5, v0, v10
	v_fma_f16 v1, v6, v1, v19
	;; [unrolled: 1-line block ×3, first 2 shown]
	v_sub_f16_e32 v5, v27, v20
	v_sub_f16_e32 v6, v26, v23
	;; [unrolled: 1-line block ×4, first 2 shown]
	v_fma_f16 v10, v27, 2.0, -v5
	v_fma_f16 v17, v26, 2.0, -v6
	;; [unrolled: 1-line block ×4, first 2 shown]
	v_add_f16_e32 v6, v0, v6
	v_sub_f16_e32 v1, v5, v1
	v_sub_f16_e32 v17, v10, v17
	v_fma_f16 v0, v0, 2.0, -v6
	v_fma_f16 v5, v5, 2.0, -v1
	v_sub_f16_e32 v4, v16, v4
	v_pack_b32_f16 v1, v6, v1
	v_fma_f16 v6, v10, 2.0, -v17
	v_pack_b32_f16 v0, v0, v5
	v_fma_f16 v5, v16, 2.0, -v4
	v_pack_b32_f16 v4, v4, v17
	v_pack_b32_f16 v5, v5, v6
	ds_write2_b32 v18, v4, v1 offset0:32 offset1:48
	ds_write2_b32 v18, v5, v0 offset1:16
	s_waitcnt lgkmcnt(0)
	; wave barrier
	s_waitcnt lgkmcnt(0)
	ds_read2st64_b32 v[0:1], v13 offset0:2 offset1:3
	ds_read2st64_b32 v[16:17], v13 offset1:1
	v_add_co_u32_e32 v2, vcc, s0, v21
	v_addc_co_u32_e32 v3, vcc, v22, v25, vcc
	s_waitcnt lgkmcnt(1)
	v_lshrrev_b32_e32 v6, 16, v0
	v_lshrrev_b32_e32 v10, 16, v1
	v_mul_f16_sdwa v18, v8, v0 dst_sel:DWORD dst_unused:UNUSED_PAD src0_sel:WORD_1 src1_sel:DWORD
	v_mul_f16_sdwa v19, v9, v1 dst_sel:DWORD dst_unused:UNUSED_PAD src0_sel:WORD_1 src1_sel:DWORD
	s_waitcnt lgkmcnt(0)
	v_lshrrev_b32_e32 v20, 16, v17
	v_mul_f16_sdwa v23, v7, v17 dst_sel:DWORD dst_unused:UNUSED_PAD src0_sel:WORD_1 src1_sel:DWORD
	v_mul_f16_sdwa v26, v8, v6 dst_sel:DWORD dst_unused:UNUSED_PAD src0_sel:WORD_1 src1_sel:DWORD
	v_fma_f16 v6, v8, v6, -v18
	v_mul_f16_sdwa v18, v9, v10 dst_sel:DWORD dst_unused:UNUSED_PAD src0_sel:WORD_1 src1_sel:DWORD
	v_fma_f16 v10, v9, v10, -v19
	v_fma_f16 v19, v7, v20, -v23
	v_mul_f16_sdwa v20, v7, v20 dst_sel:DWORD dst_unused:UNUSED_PAD src0_sel:WORD_1 src1_sel:DWORD
	v_lshrrev_b32_e32 v24, 16, v16
	v_fma_f16 v0, v8, v0, v26
	v_fma_f16 v1, v9, v1, v18
	;; [unrolled: 1-line block ×3, first 2 shown]
	v_sub_f16_e32 v6, v24, v6
	v_sub_f16_e32 v8, v19, v10
	;; [unrolled: 1-line block ×4, first 2 shown]
	v_fma_f16 v9, v24, 2.0, -v6
	v_fma_f16 v10, v19, 2.0, -v8
	;; [unrolled: 1-line block ×4, first 2 shown]
	v_add_f16_e32 v8, v0, v8
	v_sub_f16_e32 v1, v6, v1
	v_sub_f16_e32 v10, v9, v10
	;; [unrolled: 1-line block ×3, first 2 shown]
	v_fma_f16 v0, v0, 2.0, -v8
	v_fma_f16 v6, v6, 2.0, -v1
	;; [unrolled: 1-line block ×3, first 2 shown]
	v_pack_b32_f16 v1, v8, v1
	v_fma_f16 v8, v16, 2.0, -v7
	v_pack_b32_f16 v0, v0, v6
	v_pack_b32_f16 v6, v7, v10
	;; [unrolled: 1-line block ×3, first 2 shown]
	ds_write2st64_b32 v13, v6, v1 offset0:2 offset1:3
	ds_write2st64_b32 v13, v7, v0 offset1:1
	s_waitcnt lgkmcnt(0)
	; wave barrier
	s_waitcnt lgkmcnt(0)
	ds_read2st64_b32 v[0:1], v13 offset1:1
	ds_read2st64_b32 v[8:9], v13 offset0:2 offset1:3
	s_movk_i32 s2, 0x1c00
	v_add_co_u32_e32 v4, vcc, s0, v2
	s_waitcnt lgkmcnt(1)
	v_lshrrev_b32_e32 v10, 16, v0
	v_mul_f16_sdwa v13, v11, v0 dst_sel:DWORD dst_unused:UNUSED_PAD src0_sel:WORD_1 src1_sel:DWORD
	v_lshrrev_b32_e32 v16, 16, v1
	v_mul_f16_sdwa v17, v12, v1 dst_sel:DWORD dst_unused:UNUSED_PAD src0_sel:WORD_1 src1_sel:DWORD
	s_waitcnt lgkmcnt(0)
	v_lshrrev_b32_e32 v18, 16, v8
	v_mul_f16_sdwa v19, v14, v8 dst_sel:DWORD dst_unused:UNUSED_PAD src0_sel:WORD_1 src1_sel:DWORD
	v_lshrrev_b32_e32 v20, 16, v9
	v_fma_f16 v13, v11, v10, -v13
	v_mul_f16_sdwa v10, v11, v10 dst_sel:DWORD dst_unused:UNUSED_PAD src0_sel:WORD_1 src1_sel:DWORD
	v_mul_f16_sdwa v23, v15, v9 dst_sel:DWORD dst_unused:UNUSED_PAD src0_sel:WORD_1 src1_sel:DWORD
	;; [unrolled: 1-line block ×3, first 2 shown]
	v_fma_f16 v16, v12, v16, -v17
	v_fma_f16 v17, v14, v18, -v19
	v_mul_f16_sdwa v18, v14, v18 dst_sel:DWORD dst_unused:UNUSED_PAD src0_sel:WORD_1 src1_sel:DWORD
	v_mul_f16_sdwa v19, v15, v20 dst_sel:DWORD dst_unused:UNUSED_PAD src0_sel:WORD_1 src1_sel:DWORD
	v_fma_f16 v0, v11, v0, v10
	v_addc_co_u32_e32 v5, vcc, v3, v25, vcc
	v_fma_f16 v20, v15, v20, -v23
	v_fma_f16 v1, v12, v1, v24
	v_fma_f16 v8, v14, v8, v18
	;; [unrolled: 1-line block ×3, first 2 shown]
	v_mul_f16_sdwa v10, v13, s2 dst_sel:WORD_1 dst_unused:UNUSED_PAD src0_sel:DWORD src1_sel:DWORD
	v_mul_f16_e32 v0, 0x1c00, v0
	v_add_co_u32_e32 v6, vcc, s0, v4
	v_mul_f16_sdwa v11, v16, s2 dst_sel:WORD_1 dst_unused:UNUSED_PAD src0_sel:DWORD src1_sel:DWORD
	v_mul_f16_sdwa v12, v17, s2 dst_sel:WORD_1 dst_unused:UNUSED_PAD src0_sel:DWORD src1_sel:DWORD
	;; [unrolled: 1-line block ×3, first 2 shown]
	v_mul_f16_e32 v1, 0x1c00, v1
	v_mul_f16_e32 v8, 0x1c00, v8
	;; [unrolled: 1-line block ×3, first 2 shown]
	v_or_b32_e32 v0, v10, v0
	v_addc_co_u32_e32 v7, vcc, v5, v25, vcc
	v_or_b32_e32 v1, v11, v1
	v_or_b32_e32 v8, v12, v8
	;; [unrolled: 1-line block ×3, first 2 shown]
	global_store_dword v[21:22], v0, off
	global_store_dword v[2:3], v1, off
	;; [unrolled: 1-line block ×4, first 2 shown]
.LBB0_2:
	s_endpgm
	.section	.rodata,"a",@progbits
	.p2align	6, 0x0
	.amdhsa_kernel bluestein_single_fwd_len256_dim1_half_op_CI_CI
		.amdhsa_group_segment_fixed_size 1024
		.amdhsa_private_segment_fixed_size 0
		.amdhsa_kernarg_size 104
		.amdhsa_user_sgpr_count 6
		.amdhsa_user_sgpr_private_segment_buffer 1
		.amdhsa_user_sgpr_dispatch_ptr 0
		.amdhsa_user_sgpr_queue_ptr 0
		.amdhsa_user_sgpr_kernarg_segment_ptr 1
		.amdhsa_user_sgpr_dispatch_id 0
		.amdhsa_user_sgpr_flat_scratch_init 0
		.amdhsa_user_sgpr_private_segment_size 0
		.amdhsa_uses_dynamic_stack 0
		.amdhsa_system_sgpr_private_segment_wavefront_offset 0
		.amdhsa_system_sgpr_workgroup_id_x 1
		.amdhsa_system_sgpr_workgroup_id_y 0
		.amdhsa_system_sgpr_workgroup_id_z 0
		.amdhsa_system_sgpr_workgroup_info 0
		.amdhsa_system_vgpr_workitem_id 0
		.amdhsa_next_free_vgpr 31
		.amdhsa_next_free_sgpr 20
		.amdhsa_reserve_vcc 1
		.amdhsa_reserve_flat_scratch 0
		.amdhsa_float_round_mode_32 0
		.amdhsa_float_round_mode_16_64 0
		.amdhsa_float_denorm_mode_32 3
		.amdhsa_float_denorm_mode_16_64 3
		.amdhsa_dx10_clamp 1
		.amdhsa_ieee_mode 1
		.amdhsa_fp16_overflow 0
		.amdhsa_exception_fp_ieee_invalid_op 0
		.amdhsa_exception_fp_denorm_src 0
		.amdhsa_exception_fp_ieee_div_zero 0
		.amdhsa_exception_fp_ieee_overflow 0
		.amdhsa_exception_fp_ieee_underflow 0
		.amdhsa_exception_fp_ieee_inexact 0
		.amdhsa_exception_int_div_zero 0
	.end_amdhsa_kernel
	.text
.Lfunc_end0:
	.size	bluestein_single_fwd_len256_dim1_half_op_CI_CI, .Lfunc_end0-bluestein_single_fwd_len256_dim1_half_op_CI_CI
                                        ; -- End function
	.section	.AMDGPU.csdata,"",@progbits
; Kernel info:
; codeLenInByte = 3268
; NumSgprs: 24
; NumVgprs: 31
; ScratchSize: 0
; MemoryBound: 0
; FloatMode: 240
; IeeeMode: 1
; LDSByteSize: 1024 bytes/workgroup (compile time only)
; SGPRBlocks: 2
; VGPRBlocks: 7
; NumSGPRsForWavesPerEU: 24
; NumVGPRsForWavesPerEU: 31
; Occupancy: 8
; WaveLimiterHint : 1
; COMPUTE_PGM_RSRC2:SCRATCH_EN: 0
; COMPUTE_PGM_RSRC2:USER_SGPR: 6
; COMPUTE_PGM_RSRC2:TRAP_HANDLER: 0
; COMPUTE_PGM_RSRC2:TGID_X_EN: 1
; COMPUTE_PGM_RSRC2:TGID_Y_EN: 0
; COMPUTE_PGM_RSRC2:TGID_Z_EN: 0
; COMPUTE_PGM_RSRC2:TIDIG_COMP_CNT: 0
	.type	__hip_cuid_1c162f4fc14413fd,@object ; @__hip_cuid_1c162f4fc14413fd
	.section	.bss,"aw",@nobits
	.globl	__hip_cuid_1c162f4fc14413fd
__hip_cuid_1c162f4fc14413fd:
	.byte	0                               ; 0x0
	.size	__hip_cuid_1c162f4fc14413fd, 1

	.ident	"AMD clang version 19.0.0git (https://github.com/RadeonOpenCompute/llvm-project roc-6.4.0 25133 c7fe45cf4b819c5991fe208aaa96edf142730f1d)"
	.section	".note.GNU-stack","",@progbits
	.addrsig
	.addrsig_sym __hip_cuid_1c162f4fc14413fd
	.amdgpu_metadata
---
amdhsa.kernels:
  - .args:
      - .actual_access:  read_only
        .address_space:  global
        .offset:         0
        .size:           8
        .value_kind:     global_buffer
      - .actual_access:  read_only
        .address_space:  global
        .offset:         8
        .size:           8
        .value_kind:     global_buffer
      - .actual_access:  read_only
        .address_space:  global
        .offset:         16
        .size:           8
        .value_kind:     global_buffer
      - .actual_access:  read_only
        .address_space:  global
        .offset:         24
        .size:           8
        .value_kind:     global_buffer
      - .actual_access:  read_only
        .address_space:  global
        .offset:         32
        .size:           8
        .value_kind:     global_buffer
      - .offset:         40
        .size:           8
        .value_kind:     by_value
      - .address_space:  global
        .offset:         48
        .size:           8
        .value_kind:     global_buffer
      - .address_space:  global
        .offset:         56
        .size:           8
        .value_kind:     global_buffer
      - .address_space:  global
        .offset:         64
        .size:           8
        .value_kind:     global_buffer
      - .address_space:  global
        .offset:         72
        .size:           8
        .value_kind:     global_buffer
      - .offset:         80
        .size:           4
        .value_kind:     by_value
      - .address_space:  global
        .offset:         88
        .size:           8
        .value_kind:     global_buffer
      - .address_space:  global
        .offset:         96
        .size:           8
        .value_kind:     global_buffer
    .group_segment_fixed_size: 1024
    .kernarg_segment_align: 8
    .kernarg_segment_size: 104
    .language:       OpenCL C
    .language_version:
      - 2
      - 0
    .max_flat_workgroup_size: 64
    .name:           bluestein_single_fwd_len256_dim1_half_op_CI_CI
    .private_segment_fixed_size: 0
    .sgpr_count:     24
    .sgpr_spill_count: 0
    .symbol:         bluestein_single_fwd_len256_dim1_half_op_CI_CI.kd
    .uniform_work_group_size: 1
    .uses_dynamic_stack: false
    .vgpr_count:     31
    .vgpr_spill_count: 0
    .wavefront_size: 64
amdhsa.target:   amdgcn-amd-amdhsa--gfx906
amdhsa.version:
  - 1
  - 2
...

	.end_amdgpu_metadata
